;; amdgpu-corpus repo=zjin-lcf/HeCBench kind=compiled arch=gfx90a opt=O3
	.text
	.amdgcn_target "amdgcn-amd-amdhsa--gfx90a"
	.amdhsa_code_object_version 6
	.protected	_Z18sequence_aa_kernelbPKcS0_PKjS2_PsS3_S3_S3_S3_ssPKsS5_ ; -- Begin function _Z18sequence_aa_kernelbPKcS0_PKjS2_PsS3_S3_S3_S3_ssPKsS5_
	.globl	_Z18sequence_aa_kernelbPKcS0_PKjS2_PsS3_S3_S3_S3_ssPKsS5_
	.p2align	8
	.type	_Z18sequence_aa_kernelbPKcS0_PKjS2_PsS3_S3_S3_S3_ssPKsS5_,@function
_Z18sequence_aa_kernelbPKcS0_PKjS2_PsS3_S3_S3_S3_ssPKsS5_: ; @_Z18sequence_aa_kernelbPKcS0_PKjS2_PsS3_S3_S3_S3_ssPKsS5_
; %bb.0:
	s_load_dwordx8 s[8:15], s[4:5], 0x8
	s_cmp_lg_u32 s6, 0
	s_cbranch_scc0 .LBB0_71
; %bb.1:
	s_ashr_i32 s7, s6, 31
	s_lshl_b64 s[0:1], s[6:7], 2
	s_waitcnt lgkmcnt(0)
	s_add_u32 s2, s12, s0
	s_addc_u32 s3, s13, s1
	s_add_u32 s2, s2, -4
	s_addc_u32 s3, s3, -1
	s_load_dwordx2 s[2:3], s[2:3], 0x0
	s_waitcnt lgkmcnt(0)
	s_sub_i32 s38, s3, s2
	s_add_u32 s0, s14, s0
	s_addc_u32 s1, s15, s1
	s_add_u32 s0, s0, -4
	s_addc_u32 s1, s1, -1
	s_load_dwordx2 s[0:1], s[0:1], 0x0
	s_waitcnt lgkmcnt(0)
	s_sub_i32 s39, s1, s0
	s_add_u32 s34, s8, s2
	s_addc_u32 s35, s9, 0
	s_add_u32 s30, s10, s0
	s_addc_u32 s31, s11, 0
	s_load_dwordx2 s[16:17], s[4:5], 0x30
	s_load_dwordx2 s[20:21], s[4:5], 0x40
	s_cbranch_execnz .LBB0_3
.LBB0_2:
	s_waitcnt lgkmcnt(0)
	s_load_dword s38, s[12:13], 0x0
	s_load_dword s39, s[14:15], 0x0
	s_mov_b64 s[30:31], s[10:11]
	s_mov_b64 s[34:35], s[8:9]
.LBB0_3:
	s_load_dword s0, s[4:5], 0x0
	s_waitcnt lgkmcnt(0)
	s_bitcmp1_b32 s0, 0
	s_cselect_b64 s[0:1], -1, 0
	s_xor_b64 s[24:25], s[0:1], -1
	s_and_b64 vcc, exec, s[24:25]
	s_cbranch_vccnz .LBB0_5
; %bb.4:
	s_ashr_i32 s7, s6, 31
	s_lshl_b64 s[2:3], s[6:7], 1
	s_add_u32 s8, s20, s2
	s_addc_u32 s9, s21, s3
	s_add_u32 s2, s16, s2
	v_mov_b32_e32 v1, 0
	s_addc_u32 s3, s17, s3
	global_load_sshort v2, v1, s[2:3]
	global_load_sshort v3, v1, s[8:9]
	s_waitcnt vmcnt(1)
	v_readfirstlane_b32 s38, v2
	s_waitcnt vmcnt(0)
	v_readfirstlane_b32 s39, v3
.LBB0_5:
	s_load_dwordx4 s[12:15], s[4:5], 0x58
	s_load_dwordx2 s[18:19], s[4:5], 0x28
	s_load_dwordx2 s[26:27], s[4:5], 0x48
	;; [unrolled: 1-line block ×3, first 2 shown]
	s_min_u32 s33, s38, s39
	v_cmp_gt_u32_e64 s[2:3], s33, v0
	s_and_saveexec_b64 s[8:9], s[2:3]
	s_cbranch_execz .LBB0_8
; %bb.6:
	s_mov_b64 s[10:11], 0
	v_mov_b32_e32 v1, 0
	v_mov_b32_e32 v2, v0
.LBB0_7:                                ; =>This Inner Loop Header: Depth=1
	v_add_u32_e32 v3, 0x1ec0, v2
	v_add_u32_e32 v2, 32, v2
	v_cmp_le_u32_e32 vcc, s33, v2
	s_or_b64 s[10:11], vcc, s[10:11]
	ds_write_b8 v3, v1
	s_andn2_b64 exec, exec, s[10:11]
	s_cbranch_execnz .LBB0_7
.LBB0_8:
	s_or_b64 exec, exec, s[8:9]
	s_add_i32 s40, s33, 0x1ec0
	s_and_saveexec_b64 s[8:9], s[2:3]
	s_cbranch_execz .LBB0_11
; %bb.9:
	s_mov_b64 s[10:11], 0
	v_mov_b32_e32 v1, 1
	v_mov_b32_e32 v2, v0
.LBB0_10:                               ; =>This Inner Loop Header: Depth=1
	v_add_u32_e32 v3, s40, v2
	v_add_u32_e32 v2, 32, v2
	v_cmp_le_u32_e32 vcc, s33, v2
	s_or_b64 s[10:11], vcc, s[10:11]
	ds_write_b8 v3, v1
	s_andn2_b64 exec, exec, s[10:11]
	s_cbranch_execnz .LBB0_10
.LBB0_11:
	s_or_b64 exec, exec, s[8:9]
	s_add_i32 s40, s40, s33
	s_and_saveexec_b64 s[8:9], s[2:3]
	s_cbranch_execz .LBB0_14
; %bb.12:
	s_mov_b64 s[10:11], 0
	v_mov_b32_e32 v1, 0
	v_mov_b32_e32 v2, v0
.LBB0_13:                               ; =>This Inner Loop Header: Depth=1
	v_add_u32_e32 v3, s40, v2
	v_add_u32_e32 v2, 32, v2
	v_cmp_le_u32_e32 vcc, s33, v2
	s_or_b64 s[10:11], vcc, s[10:11]
	ds_write_b8 v3, v1
	s_andn2_b64 exec, exec, s[10:11]
	s_cbranch_execnz .LBB0_13
.LBB0_14:
	s_or_b64 exec, exec, s[8:9]
	s_cmp_ge_u32 s38, s39
	s_cselect_b64 s[28:29], -1, 0
	s_and_b64 vcc, exec, s[28:29]
	s_cbranch_vccz .LBB0_17
; %bb.15:
	v_cmp_gt_u32_e32 vcc, s39, v0
	s_and_b64 s[8:9], vcc, exec
	s_mov_b64 s[36:37], s[30:31]
	s_cbranch_execz .LBB0_18
; %bb.16:
	s_mov_b64 s[30:31], s[34:35]
	s_mov_b64 s[34:35], s[36:37]
	s_mov_b32 s7, s39
                                        ; implicit-def: $vgpr6
	s_and_saveexec_b64 s[10:11], s[8:9]
	s_cbranch_execnz .LBB0_19
	s_branch .LBB0_20
.LBB0_17:
	s_mov_b64 s[8:9], 0
                                        ; implicit-def: $sgpr36_sgpr37
.LBB0_18:
	v_cmp_gt_u32_e32 vcc, s38, v0
	s_andn2_b64 s[8:9], s[8:9], exec
	s_and_b64 s[10:11], vcc, exec
	s_or_b64 s[8:9], s[8:9], s[10:11]
	s_mov_b32 s7, s38
                                        ; implicit-def: $vgpr6
	s_and_saveexec_b64 s[10:11], s[8:9]
	s_cbranch_execz .LBB0_20
.LBB0_19:
	v_xad_u32 v1, v0, -1, s7
	v_cndmask_b32_e64 v1, v0, v1, s[0:1]
	global_load_ubyte v6, v1, s[34:35]
.LBB0_20:
	s_or_b64 exec, exec, s[10:11]
	s_waitcnt lgkmcnt(0)
	s_barrier
	s_load_dword s7, s[4:5], 0x74
	s_movk_i32 s8, 0x240
	v_cmp_gt_u32_e32 vcc, s8, v0
	s_waitcnt lgkmcnt(0)
	s_and_b32 s7, s7, 0xffff
	s_and_saveexec_b64 s[10:11], vcc
	s_cbranch_execz .LBB0_33
; %bb.21:
	v_cvt_f32_u32_e32 v1, s7
	v_add_u32_e32 v2, s7, v0
	v_mov_b32_e32 v3, s7
	s_sub_i32 s34, 0, s7
	v_rcp_iflag_f32_e32 v1, v1
	v_cmp_gt_u32_e32 vcc, s8, v2
	v_max_u32_e32 v4, 0x240, v2
	v_addc_co_u32_e64 v2, s[8:9], v0, v3, vcc
	v_mul_f32_e32 v1, 0x4f7ffffe, v1
	v_cvt_u32_f32_e32 v1, v1
	v_sub_u32_e32 v2, v4, v2
	s_cmp_eq_u32 s7, 1
	v_mul_lo_u32 v3, s34, v1
	v_mul_hi_u32 v3, v1, v3
	v_add_u32_e32 v1, v1, v3
	v_mul_hi_u32 v1, v2, v1
	v_mul_lo_u32 v3, v1, s7
	v_sub_u32_e32 v2, v2, v3
	v_add_u32_e32 v4, 1, v1
	v_cmp_le_u32_e64 s[8:9], s7, v2
	v_subrev_u32_e32 v3, s7, v2
	v_cndmask_b32_e64 v1, v1, v4, s[8:9]
	v_cndmask_b32_e64 v2, v2, v3, s[8:9]
	v_add_u32_e32 v3, 1, v1
	v_cmp_le_u32_e64 s[8:9], s7, v2
	v_cndmask_b32_e64 v3, v1, v3, s[8:9]
	v_addc_co_u32_e64 v1, s[8:9], 1, v3, vcc
	v_cmp_lt_u32_e64 s[8:9], 3, v1
	s_cselect_b64 s[34:35], -1, 0
	s_and_b64 s[36:37], s[8:9], s[34:35]
	s_mov_b64 s[34:35], -1
	v_mov_b32_e32 v2, v0
	s_and_saveexec_b64 s[8:9], s[36:37]
	s_cbranch_execz .LBB0_30
; %bb.22:
	v_addc_co_u32_e32 v2, vcc, 0, v3, vcc
	v_add_u32_e32 v2, -3, v2
	v_lshrrev_b32_e32 v3, 2, v2
	v_add_u32_e32 v4, 1, v3
	v_cmp_lt_u32_e32 vcc, 27, v2
	v_mov_b32_e32 v9, 0
	s_and_saveexec_b64 s[34:35], vcc
	s_cbranch_execz .LBB0_26
; %bb.23:
	v_mov_b32_e32 v2, 0x1800
	v_and_b32_e32 v5, 0x7ffffff8, v4
	v_lshl_or_b32 v7, v0, 1, v2
	s_mov_b32 s41, 0
	s_mov_b64 s[36:37], 0
	v_mov_b32_e32 v8, s13
	v_mov_b32_e32 v3, 0
	;; [unrolled: 1-line block ×3, first 2 shown]
.LBB0_24:                               ; =>This Inner Loop Header: Depth=1
	v_lshlrev_b64 v[10:11], 1, v[2:3]
	v_add_u32_e32 v12, 4, v2
	v_mov_b32_e32 v13, v3
	v_add_co_u32_e32 v26, vcc, s12, v10
	v_add_u32_e32 v14, 8, v2
	v_mov_b32_e32 v15, v3
	v_add_u32_e32 v16, 12, v2
	v_mov_b32_e32 v17, v3
	;; [unrolled: 2-line block ×6, first 2 shown]
	v_addc_co_u32_e32 v27, vcc, v8, v11, vcc
	v_lshlrev_b64 v[10:11], 1, v[12:13]
	v_lshlrev_b64 v[12:13], 1, v[14:15]
	;; [unrolled: 1-line block ×7, first 2 shown]
	v_add_co_u32_e32 v24, vcc, s12, v10
	v_addc_co_u32_e32 v25, vcc, v8, v11, vcc
	v_add_co_u32_e32 v28, vcc, s12, v12
	v_addc_co_u32_e32 v29, vcc, v8, v13, vcc
	;; [unrolled: 2-line block ×7, first 2 shown]
	global_load_dwordx2 v[10:11], v[26:27], off
	global_load_dwordx2 v[12:13], v[24:25], off
	;; [unrolled: 1-line block ×8, first 2 shown]
	v_add_u32_e32 v5, -8, v5
	s_add_i32 s41, s41, 32
	v_cmp_eq_u32_e32 vcc, 0, v5
	v_add_u32_e32 v2, 32, v2
	v_mov_b32_e32 v9, s41
	s_or_b64 s[36:37], vcc, s[36:37]
	s_waitcnt vmcnt(6)
	ds_write_b128 v7, v[10:13]
	s_waitcnt vmcnt(4)
	ds_write_b128 v7, v[14:17] offset:16
	s_waitcnt vmcnt(2)
	ds_write_b128 v7, v[18:21] offset:32
	s_waitcnt vmcnt(0)
	ds_write2_b64 v7, v[38:39], v[40:41] offset0:6 offset1:7
	v_add_u32_e32 v7, 64, v7
	s_andn2_b64 exec, exec, s[36:37]
	s_cbranch_execnz .LBB0_24
; %bb.25:
	s_or_b64 exec, exec, s[36:37]
.LBB0_26:
	s_or_b64 exec, exec, s[34:35]
	v_and_b32_e32 v4, 7, v4
	v_cmp_ne_u32_e32 vcc, 0, v4
	s_and_saveexec_b64 s[34:35], vcc
	s_cbranch_execz .LBB0_29
; %bb.27:
	v_add_u32_e32 v2, v0, v9
	v_mov_b32_e32 v3, 0x1800
	v_lshl_add_u32 v5, v2, 1, v3
	s_mov_b64 s[36:37], 0
	v_mov_b32_e32 v3, 0
	v_mov_b32_e32 v7, s13
.LBB0_28:                               ; =>This Inner Loop Header: Depth=1
	v_lshlrev_b64 v[8:9], 1, v[2:3]
	v_add_co_u32_e32 v8, vcc, s12, v8
	v_addc_co_u32_e32 v9, vcc, v7, v9, vcc
	global_load_dwordx2 v[8:9], v[8:9], off
	v_add_u32_e32 v4, -1, v4
	v_cmp_eq_u32_e32 vcc, 0, v4
	v_add_u32_e32 v2, 4, v2
	s_or_b64 s[36:37], vcc, s[36:37]
	s_waitcnt vmcnt(0)
	ds_write_b64 v5, v[8:9]
	v_add_u32_e32 v5, 8, v5
	s_andn2_b64 exec, exec, s[36:37]
	s_cbranch_execnz .LBB0_28
.LBB0_29:
	s_or_b64 exec, exec, s[34:35]
	v_and_b32_e32 v3, -4, v1
	v_cmp_ne_u32_e32 vcc, v1, v3
	v_add_u32_e32 v2, v0, v3
	s_orn2_b64 s[34:35], vcc, exec
.LBB0_30:
	s_or_b64 exec, exec, s[8:9]
	s_and_b64 exec, exec, s[34:35]
	s_cbranch_execz .LBB0_33
; %bb.31:
	v_mov_b32_e32 v3, 0
	v_lshlrev_b64 v[4:5], 1, v[2:3]
	v_mov_b32_e32 v1, s13
	v_add_co_u32_e32 v4, vcc, s12, v4
	s_mov_b32 s34, 0
	v_addc_co_u32_e32 v5, vcc, v1, v5, vcc
	v_mov_b32_e32 v1, 0x1800
	s_lshl_b32 s12, s7, 1
	v_lshl_add_u32 v1, v2, 1, v1
	s_mov_b64 s[8:9], 0
	v_mov_b32_e32 v3, s34
	s_movk_i32 s13, 0x23f
.LBB0_32:                               ; =>This Inner Loop Header: Depth=1
	global_load_ushort v7, v[4:5], off
	v_add_co_u32_e32 v4, vcc, s12, v4
	v_add_u32_e32 v2, s7, v2
	v_addc_co_u32_e32 v5, vcc, v5, v3, vcc
	v_cmp_lt_u32_e32 vcc, s13, v2
	s_or_b64 s[8:9], vcc, s[8:9]
	s_waitcnt vmcnt(0)
	ds_write_b16 v1, v7
	v_add_u32_e32 v1, s12, v1
	s_andn2_b64 exec, exec, s[8:9]
	s_cbranch_execnz .LBB0_32
.LBB0_33:
	s_or_b64 exec, exec, s[10:11]
	s_movk_i32 s8, 0x5b
	v_cmp_gt_u32_e32 vcc, s8, v0
	s_and_saveexec_b64 s[10:11], vcc
	s_cbranch_execz .LBB0_46
; %bb.34:
	v_cvt_f32_u32_e32 v1, s7
	v_add_u32_e32 v2, s7, v0
	v_mov_b32_e32 v3, s7
	s_sub_i32 s12, 0, s7
	v_rcp_iflag_f32_e32 v1, v1
	v_cmp_gt_u32_e32 vcc, s8, v2
	v_max_u32_e32 v4, 0x5b, v2
	v_addc_co_u32_e64 v2, s[8:9], v0, v3, vcc
	v_mul_f32_e32 v1, 0x4f7ffffe, v1
	v_cvt_u32_f32_e32 v1, v1
	v_sub_u32_e32 v2, v4, v2
	s_cmp_eq_u32 s7, 1
	v_mul_lo_u32 v3, s12, v1
	v_mul_hi_u32 v3, v1, v3
	v_add_u32_e32 v1, v1, v3
	v_mul_hi_u32 v1, v2, v1
	v_mul_lo_u32 v3, v1, s7
	v_sub_u32_e32 v2, v2, v3
	v_add_u32_e32 v4, 1, v1
	v_cmp_le_u32_e64 s[8:9], s7, v2
	v_subrev_u32_e32 v3, s7, v2
	v_cndmask_b32_e64 v1, v1, v4, s[8:9]
	v_cndmask_b32_e64 v2, v2, v3, s[8:9]
	v_add_u32_e32 v3, 1, v1
	v_cmp_le_u32_e64 s[8:9], s7, v2
	v_cndmask_b32_e64 v3, v1, v3, s[8:9]
	v_addc_co_u32_e64 v1, s[8:9], 1, v3, vcc
	v_cmp_lt_u32_e64 s[8:9], 3, v1
	s_cselect_b64 s[12:13], -1, 0
	s_and_b64 s[34:35], s[8:9], s[12:13]
	s_mov_b64 s[12:13], -1
	v_mov_b32_e32 v2, v0
	s_and_saveexec_b64 s[8:9], s[34:35]
	s_cbranch_execz .LBB0_43
; %bb.35:
	v_addc_co_u32_e32 v2, vcc, 0, v3, vcc
	v_add_u32_e32 v2, -3, v2
	v_lshrrev_b32_e32 v3, 2, v2
	v_add_u32_e32 v4, 1, v3
	v_cmp_lt_u32_e32 vcc, 27, v2
	v_mov_b32_e32 v9, 0
	s_and_saveexec_b64 s[12:13], vcc
	s_cbranch_execz .LBB0_39
; %bb.36:
	v_mov_b32_e32 v2, 0x1c80
	v_and_b32_e32 v5, 0x7ffffff8, v4
	v_lshl_add_u32 v7, v0, 1, v2
	s_mov_b32 s36, 0
	s_mov_b64 s[34:35], 0
	v_mov_b32_e32 v8, s15
	v_mov_b32_e32 v3, 0
	;; [unrolled: 1-line block ×3, first 2 shown]
.LBB0_37:                               ; =>This Inner Loop Header: Depth=1
	v_lshlrev_b64 v[10:11], 1, v[2:3]
	v_add_u32_e32 v12, 4, v2
	v_mov_b32_e32 v13, v3
	v_add_co_u32_e32 v26, vcc, s14, v10
	v_add_u32_e32 v14, 8, v2
	v_mov_b32_e32 v15, v3
	v_add_u32_e32 v16, 12, v2
	v_mov_b32_e32 v17, v3
	;; [unrolled: 2-line block ×6, first 2 shown]
	v_addc_co_u32_e32 v27, vcc, v8, v11, vcc
	v_lshlrev_b64 v[10:11], 1, v[12:13]
	v_lshlrev_b64 v[12:13], 1, v[14:15]
	;; [unrolled: 1-line block ×7, first 2 shown]
	v_add_co_u32_e32 v24, vcc, s14, v10
	v_addc_co_u32_e32 v25, vcc, v8, v11, vcc
	v_add_co_u32_e32 v28, vcc, s14, v12
	v_addc_co_u32_e32 v29, vcc, v8, v13, vcc
	;; [unrolled: 2-line block ×7, first 2 shown]
	global_load_dwordx2 v[10:11], v[26:27], off
	global_load_dwordx2 v[12:13], v[24:25], off
	;; [unrolled: 1-line block ×8, first 2 shown]
	v_add_u32_e32 v5, -8, v5
	s_add_i32 s36, s36, 32
	v_cmp_eq_u32_e32 vcc, 0, v5
	v_add_u32_e32 v2, 32, v2
	v_mov_b32_e32 v9, s36
	s_or_b64 s[34:35], vcc, s[34:35]
	s_waitcnt vmcnt(6)
	ds_write_b128 v7, v[10:13]
	s_waitcnt vmcnt(4)
	ds_write_b128 v7, v[14:17] offset:16
	s_waitcnt vmcnt(2)
	ds_write_b128 v7, v[18:21] offset:32
	s_waitcnt vmcnt(0)
	ds_write2_b64 v7, v[38:39], v[40:41] offset0:6 offset1:7
	v_add_u32_e32 v7, 64, v7
	s_andn2_b64 exec, exec, s[34:35]
	s_cbranch_execnz .LBB0_37
; %bb.38:
	s_or_b64 exec, exec, s[34:35]
.LBB0_39:
	s_or_b64 exec, exec, s[12:13]
	v_and_b32_e32 v4, 7, v4
	v_cmp_ne_u32_e32 vcc, 0, v4
	s_and_saveexec_b64 s[12:13], vcc
	s_cbranch_execz .LBB0_42
; %bb.40:
	v_add_u32_e32 v2, v0, v9
	v_mov_b32_e32 v3, 0x1c80
	v_lshl_add_u32 v5, v2, 1, v3
	s_mov_b64 s[34:35], 0
	v_mov_b32_e32 v3, 0
	v_mov_b32_e32 v7, s15
.LBB0_41:                               ; =>This Inner Loop Header: Depth=1
	v_lshlrev_b64 v[8:9], 1, v[2:3]
	v_add_co_u32_e32 v8, vcc, s14, v8
	v_addc_co_u32_e32 v9, vcc, v7, v9, vcc
	global_load_dwordx2 v[8:9], v[8:9], off
	v_add_u32_e32 v4, -1, v4
	v_cmp_eq_u32_e32 vcc, 0, v4
	v_add_u32_e32 v2, 4, v2
	s_or_b64 s[34:35], vcc, s[34:35]
	s_waitcnt vmcnt(0)
	ds_write_b64 v5, v[8:9]
	v_add_u32_e32 v5, 8, v5
	s_andn2_b64 exec, exec, s[34:35]
	s_cbranch_execnz .LBB0_41
.LBB0_42:
	s_or_b64 exec, exec, s[12:13]
	v_and_b32_e32 v3, -4, v1
	v_cmp_ne_u32_e32 vcc, v1, v3
	v_add_u32_e32 v2, v0, v3
	s_orn2_b64 s[12:13], vcc, exec
.LBB0_43:
	s_or_b64 exec, exec, s[8:9]
	s_and_b64 exec, exec, s[12:13]
	s_cbranch_execz .LBB0_46
; %bb.44:
	v_mov_b32_e32 v3, 0
	v_lshlrev_b64 v[4:5], 1, v[2:3]
	v_mov_b32_e32 v1, s15
	v_add_co_u32_e32 v4, vcc, s14, v4
	s_mov_b32 s13, 0
	v_addc_co_u32_e32 v5, vcc, v1, v5, vcc
	v_mov_b32_e32 v1, 0x1c80
	s_lshl_b32 s12, s7, 1
	v_lshl_add_u32 v1, v2, 1, v1
	s_mov_b64 s[8:9], 0
	v_mov_b32_e32 v3, s13
	s_movk_i32 s13, 0x5a
.LBB0_45:                               ; =>This Inner Loop Header: Depth=1
	global_load_ushort v7, v[4:5], off
	v_add_co_u32_e32 v4, vcc, s12, v4
	v_add_u32_e32 v2, s7, v2
	v_addc_co_u32_e32 v5, vcc, v5, v3, vcc
	v_cmp_lt_u32_e32 vcc, s13, v2
	s_or_b64 s[8:9], vcc, s[8:9]
	s_waitcnt vmcnt(0)
	ds_write_b16 v1, v7
	v_add_u32_e32 v1, s12, v1
	s_andn2_b64 exec, exec, s[8:9]
	s_cbranch_execnz .LBB0_45
.LBB0_46:
	s_or_b64 exec, exec, s[10:11]
	v_and_b32_e32 v4, 31, v0
	v_lshrrev_b32_e32 v2, 5, v0
	s_add_i32 s45, s39, s38
	s_mov_b32 s41, 0
	s_cmp_eq_u32 s45, 1
	v_mov_b32_e32 v1, 0
	v_lshlrev_b32_e32 v5, 1, v2
	v_lshlrev_b32_e32 v3, 1, v0
	v_cmp_eq_u32_e32 vcc, 0, v4
	v_cmp_eq_u32_e64 s[8:9], 0, v0
	v_mbcnt_lo_u32_b32 v8, -1, 0
	v_mov_b32_e32 v2, 0
	v_mov_b32_e32 v7, 0
	s_waitcnt lgkmcnt(0)
	s_barrier
	s_cbranch_scc1 .LBB0_67
; %bb.47:
	s_load_dword s42, s[4:5], 0x50
	s_waitcnt vmcnt(0)
	v_bfe_i32 v2, v6, 0, 8
	v_mov_b32_e32 v6, 0x1c80
	v_add_u32_e32 v1, -1, v0
	v_lshl_add_u32 v6, v2, 1, v6
	v_xad_u32 v2, v0, -1, s33
	v_add_u32_e32 v7, 1, v0
	v_and_b32_e32 v1, 31, v1
	v_cndmask_b32_e64 v20, v7, v2, s[0:1]
	s_movk_i32 s12, 0x60
	v_mbcnt_hi_u32_b32 v2, -1, v8
	v_cmp_lt_u32_e64 s[10:11], 31, v0
	v_and_or_b32 v1, v2, s12, v1
	s_max_u32 s43, s38, s39
	v_cmp_eq_u32_e64 s[4:5], 31, v4
	v_or_b32_e32 v9, 0x1d40, v5
	v_or_b32_e32 v10, 0x1dc0, v5
	s_waitcnt lgkmcnt(0)
	s_lshr_b32 s44, s42, 16
	v_or_b32_e32 v11, 0x1d80, v5
	v_or_b32_e32 v12, 0x1000, v3
	;; [unrolled: 1-line block ×3, first 2 shown]
	s_and_b64 s[10:11], s[10:11], vcc
	v_add_u32_e32 v14, 0x1d7e, v5
	v_add_u32_e32 v15, 0x1dbe, v5
	v_add_u32_e32 v16, -2, v3
	v_add_u32_e32 v17, 0x7fe, v3
	v_add_u32_e32 v18, 0x1d3e, v5
	v_add_u32_e32 v19, 0xffe, v3
	s_add_i32 s45, s45, -1
	v_mov_b32_e32 v21, s40
	v_mov_b32_e32 v27, 0
	;; [unrolled: 1-line block ×3, first 2 shown]
	v_lshlrev_b32_e32 v23, 2, v1
	v_mov_b32_e32 v1, 0
	v_mov_b32_e32 v2, 0
	;; [unrolled: 1-line block ×7, first 2 shown]
	s_and_saveexec_b64 s[12:13], s[4:5]
	s_cbranch_execz .LBB0_49
.LBB0_48:
	ds_write_b16 v11, v27
	ds_write_b16 v10, v24
	;; [unrolled: 1-line block ×3, first 2 shown]
.LBB0_49:                               ; =>This Inner Loop Header: Depth=1
	s_or_b64 exec, exec, s[12:13]
	s_cmp_ge_u32 s41, s43
	s_cselect_b64 s[14:15], -1, 0
	s_cmp_lt_u32 s41, s43
	s_cselect_b64 s[34:35], -1, 0
	s_and_b64 vcc, exec, s[34:35]
	s_cbranch_vccnz .LBB0_51
; %bb.50:                               ;   in Loop: Header=BB0_49 Depth=1
	ds_write_b16 v3, v27
	ds_write_b16 v13, v24
	;; [unrolled: 1-line block ×3, first 2 shown]
.LBB0_51:                               ;   in Loop: Header=BB0_49 Depth=1
	s_cmp_lt_u32 s41, s33
	s_cselect_b64 s[12:13], -1, 0
	s_or_b64 s[12:13], s[12:13], s[14:15]
	v_cndmask_b32_e64 v28, 0, 1, s[12:13]
	v_sub_u32_e32 v21, v21, v28
	v_add_u32_e32 v28, v21, v0
	s_waitcnt lgkmcnt(0)
	s_barrier
	ds_read_u8 v28, v28
	v_mov_b32_e32 v30, 0
	v_mov_b32_e32 v29, 0
	s_waitcnt lgkmcnt(0)
	v_cmp_ne_u16_e32 vcc, 0, v28
	s_and_b64 s[36:37], s[2:3], vcc
	v_mov_b32_e32 v28, 0
	s_and_saveexec_b64 s[12:13], s[36:37]
	s_cbranch_execz .LBB0_62
; %bb.52:                               ;   in Loop: Header=BB0_49 Depth=1
	v_and_b32_e32 v28, 0xffff, v24
	v_bfe_i32 v27, v27, 0, 16
	ds_bpermute_b32 v27, v23, v27
	ds_bpermute_b32 v28, v23, v28
	s_and_b64 vcc, exec, s[34:35]
	s_cbranch_vccz .LBB0_64
; %bb.53:                               ;   in Loop: Header=BB0_49 Depth=1
	s_and_saveexec_b64 s[36:37], s[10:11]
	s_cbranch_execz .LBB0_55
; %bb.54:                               ;   in Loop: Header=BB0_49 Depth=1
	s_waitcnt lgkmcnt(1)
	ds_read_u16 v27, v14
.LBB0_55:                               ;   in Loop: Header=BB0_49 Depth=1
	s_or_b64 exec, exec, s[36:37]
	s_mov_b64 s[36:37], s[10:11]
	s_branch .LBB0_65
.LBB0_56:                               ;   in Loop: Header=BB0_49 Depth=1
	s_waitcnt lgkmcnt(0)
	ds_read_u16 v27, v16
	s_or_b64 s[36:37], s[36:37], exec
	v_mov_b32_e32 v29, v17
                                        ; implicit-def: $vgpr28
	s_and_saveexec_b64 s[38:39], s[36:37]
	s_cbranch_execz .LBB0_58
.LBB0_57:                               ;   in Loop: Header=BB0_49 Depth=1
	s_waitcnt lgkmcnt(0)
	ds_read_u16 v28, v29
.LBB0_58:                               ;   in Loop: Header=BB0_49 Depth=1
	s_or_b64 exec, exec, s[38:39]
	v_and_b32_e32 v26, 0xffff, v26
	ds_bpermute_b32 v26, v23, v26
	s_andn2_b64 vcc, exec, s[34:35]
	s_cbranch_vccnz .LBB0_66
; %bb.59:                               ;   in Loop: Header=BB0_49 Depth=1
	s_andn2_b64 s[14:15], s[14:15], exec
	s_and_b64 s[34:35], s[10:11], exec
	s_or_b64 s[14:15], s[14:15], s[34:35]
	v_mov_b32_e32 v29, v18
	s_and_saveexec_b64 s[34:35], s[14:15]
	s_cbranch_execz .LBB0_61
.LBB0_60:                               ;   in Loop: Header=BB0_49 Depth=1
	s_waitcnt lgkmcnt(0)
	ds_read_u16 v26, v29
.LBB0_61:                               ;   in Loop: Header=BB0_49 Depth=1
	s_or_b64 exec, exec, s[34:35]
	v_sub_u32_e32 v32, s43, v22
	v_add_u32_e32 v29, -1, v22
	v_ashrrev_i32_e32 v30, 31, v29
	v_cndmask_b32_e64 v29, v29, v32, s[0:1]
	v_cndmask_b32_e64 v31, v30, 0, s[0:1]
	v_mov_b32_e32 v33, s31
	v_add_co_u32_e32 v30, vcc, s30, v29
	v_addc_co_u32_e32 v31, vcc, v33, v31, vcc
	flat_load_sbyte v29, v[30:31]
	v_add_u16_e32 v25, s44, v25
	v_add_u16_e32 v30, s42, v24
	s_waitcnt lgkmcnt(0)
	v_add_u16_e32 v28, s42, v28
	v_add_u16_e32 v27, s44, v27
	v_cndmask_b32_e64 v26, v26, 0, s[8:9]
	v_cndmask_b32_e64 v27, v27, 0, s[8:9]
	;; [unrolled: 1-line block ×3, first 2 shown]
	s_waitcnt vmcnt(0)
	v_lshlrev_b32_e32 v29, 1, v29
	ds_read_i16 v29, v29 offset:7296
	ds_read_i16 v31, v6
	s_waitcnt lgkmcnt(1)
	v_mul_i32_i24_e32 v29, 24, v29
	s_waitcnt lgkmcnt(0)
	v_add_lshl_u32 v29, v29, v31, 1
	ds_read_u16 v31, v29 offset:6144
	v_max_i16_e32 v29, v25, v30
	v_max_i16_e32 v30, v27, v28
	v_cndmask_b32_e64 v25, v22, v32, s[0:1]
	v_add_u32_e32 v22, 1, v22
	s_waitcnt lgkmcnt(0)
	v_add_u16_e32 v26, v31, v26
	v_max_i16_e32 v26, v26, v29
	v_max3_i16 v28, v26, v30, 0
	v_cmp_lt_i16_e32 vcc, v7, v28
	v_cndmask_b32_e32 v1, v1, v25, vcc
	v_max_i16_e32 v7, v7, v28
	v_cndmask_b32_e32 v2, v2, v20, vcc
.LBB0_62:                               ;   in Loop: Header=BB0_49 Depth=1
	s_or_b64 exec, exec, s[12:13]
	s_add_i32 s41, s41, 1
	s_cmp_eq_u32 s45, s41
	s_barrier
	s_cbranch_scc1 .LBB0_67
; %bb.63:                               ;   in Loop: Header=BB0_49 Depth=1
	v_mov_b32_e32 v27, v30
	v_mov_b32_e32 v26, v24
	;; [unrolled: 1-line block ×4, first 2 shown]
	s_and_saveexec_b64 s[12:13], s[4:5]
	s_cbranch_execnz .LBB0_48
	s_branch .LBB0_49
.LBB0_64:                               ;   in Loop: Header=BB0_49 Depth=1
	s_mov_b64 s[36:37], 0
                                        ; implicit-def: $vgpr28
                                        ; implicit-def: $vgpr27
	s_cbranch_execnz .LBB0_56
.LBB0_65:                               ;   in Loop: Header=BB0_49 Depth=1
	v_mov_b32_e32 v29, v15
	s_and_saveexec_b64 s[38:39], s[36:37]
	s_cbranch_execnz .LBB0_57
	s_branch .LBB0_58
.LBB0_66:                               ;   in Loop: Header=BB0_49 Depth=1
	v_mov_b32_e32 v29, v19
                                        ; implicit-def: $vgpr26
	s_and_saveexec_b64 s[34:35], s[14:15]
	s_cbranch_execnz .LBB0_60
	s_branch .LBB0_61
.LBB0_67:
	v_mbcnt_hi_u32_b32 v10, -1, v8
	v_and_b32_e32 v11, 63, v10
	v_cmp_gt_u32_e32 vcc, 48, v11
	s_waitcnt vmcnt(0)
	v_cndmask_b32_e64 v6, 0, 1, vcc
	v_lshlrev_b32_e32 v6, 4, v6
	v_and_b32_e32 v12, 0xffff, v7
	v_add_lshl_u32 v6, v6, v10, 2
	ds_bpermute_b32 v16, v6, v12
	v_bfe_i32 v17, v1, 0, 16
	v_bfe_i32 v9, v2, 0, 16
	ds_bpermute_b32 v13, v6, v17
	ds_bpermute_b32 v8, v6, v9
	s_waitcnt lgkmcnt(2)
	v_cmp_lt_i32_sdwa vcc, sext(v16), v12 src0_sel:WORD_0 src1_sel:DWORD
	v_cndmask_b32_e32 v15, v16, v7, vcc
	v_cmp_eq_u16_e32 vcc, v15, v7
	v_mov_b32_e32 v14, v15
	s_and_saveexec_b64 s[0:1], vcc
	s_cbranch_execz .LBB0_75
; %bb.68:
	v_cmp_eq_u32_sdwa s[4:5], sext(v16), v12 src0_sel:WORD_0 src1_sel:DWORD
	v_mov_b32_e32 v12, v2
	v_mov_b32_e32 v16, v1
	s_and_saveexec_b64 s[2:3], s[4:5]
	s_cbranch_execz .LBB0_74
; %bb.69:
	s_and_b64 vcc, exec, s[24:25]
	s_cbranch_vccz .LBB0_72
; %bb.70:
	s_waitcnt lgkmcnt(1)
	v_cmp_lt_i32_sdwa vcc, sext(v13), v17 src0_sel:WORD_0 src1_sel:DWORD
	v_cndmask_b32_e32 v16, v1, v13, vcc
	s_waitcnt lgkmcnt(0)
	v_cndmask_b32_e32 v12, v2, v8, vcc
	s_cbranch_execz .LBB0_73
	s_branch .LBB0_74
.LBB0_71:
                                        ; implicit-def: $sgpr38
                                        ; implicit-def: $sgpr39
                                        ; implicit-def: $sgpr34_sgpr35
                                        ; implicit-def: $sgpr30_sgpr31
	s_load_dwordx2 s[16:17], s[4:5], 0x30
	s_load_dwordx2 s[20:21], s[4:5], 0x40
	s_branch .LBB0_2
.LBB0_72:
                                        ; implicit-def: $vgpr12
                                        ; implicit-def: $vgpr16
.LBB0_73:
	s_waitcnt lgkmcnt(0)
	v_cmp_gt_i32_sdwa vcc, sext(v8), v9 src0_sel:WORD_0 src1_sel:DWORD
	v_cndmask_b32_e32 v16, v1, v13, vcc
	v_cndmask_b32_e32 v12, v2, v8, vcc
.LBB0_74:
	s_or_b64 exec, exec, s[2:3]
	v_mov_b32_e32 v14, v7
	s_waitcnt lgkmcnt(1)
	v_mov_b32_e32 v13, v16
	s_waitcnt lgkmcnt(0)
	v_mov_b32_e32 v8, v12
.LBB0_75:
	s_or_b64 exec, exec, s[0:1]
	v_cmp_gt_u32_e32 vcc, 56, v11
	v_cndmask_b32_e64 v7, 0, 1, vcc
	v_lshlrev_b32_e32 v7, 3, v7
	v_bfe_i32 v16, v15, 0, 16
	v_add_lshl_u32 v7, v7, v10, 2
	ds_bpermute_b32 v19, v7, v16
	s_waitcnt lgkmcnt(2)
	v_bfe_i32 v18, v13, 0, 16
	s_waitcnt lgkmcnt(1)
	v_bfe_i32 v17, v8, 0, 16
	ds_bpermute_b32 v12, v7, v18
	ds_bpermute_b32 v9, v7, v17
	s_waitcnt lgkmcnt(2)
	v_cmp_lt_i32_sdwa vcc, sext(v19), v16 src0_sel:WORD_0 src1_sel:DWORD
	v_cndmask_b32_e32 v16, v19, v15, vcc
	v_cmp_eq_u16_e32 vcc, v16, v14
	v_mov_b32_e32 v15, v16
	s_and_saveexec_b64 s[0:1], vcc
	s_cbranch_execz .LBB0_83
; %bb.76:
	v_bfe_i32 v15, v14, 0, 16
	v_cmp_eq_u32_sdwa s[4:5], sext(v19), v15 src0_sel:WORD_0 src1_sel:DWORD
	s_and_saveexec_b64 s[2:3], s[4:5]
	s_cbranch_execz .LBB0_82
; %bb.77:
	s_andn2_b64 vcc, exec, s[24:25]
	s_cbranch_vccnz .LBB0_79
; %bb.78:
	s_waitcnt lgkmcnt(1)
	v_cmp_lt_i32_sdwa vcc, sext(v12), v18 src0_sel:WORD_0 src1_sel:DWORD
	v_cndmask_b32_e32 v15, v13, v12, vcc
	s_waitcnt lgkmcnt(0)
	v_cndmask_b32_e32 v18, v8, v9, vcc
	s_cbranch_execz .LBB0_80
	s_branch .LBB0_81
.LBB0_79:
                                        ; implicit-def: $vgpr18
                                        ; implicit-def: $vgpr15
.LBB0_80:
	s_waitcnt lgkmcnt(0)
	v_cmp_gt_i32_sdwa vcc, sext(v9), v17 src0_sel:WORD_0 src1_sel:DWORD
	v_cndmask_b32_e32 v15, v13, v12, vcc
	v_cndmask_b32_e32 v18, v8, v9, vcc
.LBB0_81:
	v_mov_b32_e32 v8, v18
	v_mov_b32_e32 v13, v15
.LBB0_82:
	s_or_b64 exec, exec, s[2:3]
	v_mov_b32_e32 v15, v14
	s_waitcnt lgkmcnt(1)
	v_mov_b32_e32 v12, v13
	s_waitcnt lgkmcnt(0)
	v_mov_b32_e32 v9, v8
.LBB0_83:
	s_or_b64 exec, exec, s[0:1]
	v_cmp_gt_u32_e32 vcc, 60, v11
	v_cndmask_b32_e64 v8, 0, 1, vcc
	v_lshlrev_b32_e32 v8, 2, v8
	v_bfe_i32 v17, v16, 0, 16
	v_add_lshl_u32 v8, v8, v10, 2
	ds_bpermute_b32 v20, v8, v17
	s_waitcnt lgkmcnt(2)
	v_bfe_i32 v19, v12, 0, 16
	s_waitcnt lgkmcnt(1)
	v_bfe_i32 v18, v9, 0, 16
	ds_bpermute_b32 v14, v8, v19
	ds_bpermute_b32 v13, v8, v18
	s_waitcnt lgkmcnt(2)
	v_cmp_lt_i32_sdwa vcc, sext(v20), v17 src0_sel:WORD_0 src1_sel:DWORD
	v_cndmask_b32_e32 v17, v20, v16, vcc
	v_cmp_eq_u16_e32 vcc, v17, v15
	v_mov_b32_e32 v16, v17
	s_and_saveexec_b64 s[0:1], vcc
	s_cbranch_execz .LBB0_91
; %bb.84:
	v_bfe_i32 v16, v15, 0, 16
	v_cmp_eq_u32_sdwa s[4:5], sext(v20), v16 src0_sel:WORD_0 src1_sel:DWORD
	s_and_saveexec_b64 s[2:3], s[4:5]
	s_cbranch_execz .LBB0_90
; %bb.85:
	s_andn2_b64 vcc, exec, s[24:25]
	s_cbranch_vccnz .LBB0_87
; %bb.86:
	s_waitcnt lgkmcnt(1)
	v_cmp_lt_i32_sdwa vcc, sext(v14), v19 src0_sel:WORD_0 src1_sel:DWORD
	v_cndmask_b32_e32 v16, v12, v14, vcc
	s_waitcnt lgkmcnt(0)
	v_cndmask_b32_e32 v19, v9, v13, vcc
	s_cbranch_execz .LBB0_88
	s_branch .LBB0_89
.LBB0_87:
                                        ; implicit-def: $vgpr19
                                        ; implicit-def: $vgpr16
.LBB0_88:
	s_waitcnt lgkmcnt(0)
	v_cmp_gt_i32_sdwa vcc, sext(v13), v18 src0_sel:WORD_0 src1_sel:DWORD
	v_cndmask_b32_e32 v16, v12, v14, vcc
	v_cndmask_b32_e32 v19, v9, v13, vcc
.LBB0_89:
	v_mov_b32_e32 v9, v19
	v_mov_b32_e32 v12, v16
.LBB0_90:
	s_or_b64 exec, exec, s[2:3]
	v_mov_b32_e32 v16, v15
	s_waitcnt lgkmcnt(1)
	v_mov_b32_e32 v14, v12
	s_waitcnt lgkmcnt(0)
	v_mov_b32_e32 v13, v9
.LBB0_91:
	s_or_b64 exec, exec, s[0:1]
	v_cmp_gt_u32_e32 vcc, 62, v11
	v_cndmask_b32_e64 v9, 0, 1, vcc
	v_lshlrev_b32_e32 v9, 1, v9
	v_bfe_i32 v18, v17, 0, 16
	v_add_lshl_u32 v9, v9, v10, 2
	ds_bpermute_b32 v21, v9, v18
	s_waitcnt lgkmcnt(2)
	v_bfe_i32 v20, v14, 0, 16
	s_waitcnt lgkmcnt(1)
	v_bfe_i32 v19, v13, 0, 16
	ds_bpermute_b32 v15, v9, v20
	ds_bpermute_b32 v12, v9, v19
	s_waitcnt lgkmcnt(2)
	v_cmp_lt_i32_sdwa vcc, sext(v21), v18 src0_sel:WORD_0 src1_sel:DWORD
	v_cndmask_b32_e32 v18, v21, v17, vcc
	v_cmp_eq_u16_e32 vcc, v18, v16
	v_mov_b32_e32 v17, v18
	s_and_saveexec_b64 s[0:1], vcc
	s_cbranch_execz .LBB0_99
; %bb.92:
	v_bfe_i32 v17, v16, 0, 16
	v_cmp_eq_u32_sdwa s[4:5], sext(v21), v17 src0_sel:WORD_0 src1_sel:DWORD
	s_and_saveexec_b64 s[2:3], s[4:5]
	s_cbranch_execz .LBB0_98
; %bb.93:
	s_andn2_b64 vcc, exec, s[24:25]
	s_cbranch_vccnz .LBB0_95
; %bb.94:
	s_waitcnt lgkmcnt(1)
	v_cmp_lt_i32_sdwa vcc, sext(v15), v20 src0_sel:WORD_0 src1_sel:DWORD
	v_cndmask_b32_e32 v17, v14, v15, vcc
	s_waitcnt lgkmcnt(0)
	v_cndmask_b32_e32 v20, v13, v12, vcc
	s_cbranch_execz .LBB0_96
	s_branch .LBB0_97
.LBB0_95:
                                        ; implicit-def: $vgpr20
                                        ; implicit-def: $vgpr17
.LBB0_96:
	s_waitcnt lgkmcnt(0)
	v_cmp_gt_i32_sdwa vcc, sext(v12), v19 src0_sel:WORD_0 src1_sel:DWORD
	v_cndmask_b32_e32 v17, v14, v15, vcc
	v_cndmask_b32_e32 v20, v13, v12, vcc
.LBB0_97:
	v_mov_b32_e32 v13, v20
	v_mov_b32_e32 v14, v17
.LBB0_98:
	s_or_b64 exec, exec, s[2:3]
	v_mov_b32_e32 v17, v16
	s_waitcnt lgkmcnt(1)
	v_mov_b32_e32 v15, v14
	s_waitcnt lgkmcnt(0)
	v_mov_b32_e32 v12, v13
.LBB0_99:
	s_or_b64 exec, exec, s[0:1]
	v_cmp_ne_u32_e32 vcc, 63, v11
	v_addc_co_u32_e32 v10, vcc, 0, v10, vcc
	v_bfe_i32 v20, v18, 0, 16
	v_lshlrev_b32_e32 v10, 2, v10
	ds_bpermute_b32 v19, v10, v20
	s_waitcnt lgkmcnt(2)
	v_bfe_i32 v16, v15, 0, 16
	s_waitcnt lgkmcnt(1)
	v_bfe_i32 v14, v12, 0, 16
	ds_bpermute_b32 v11, v10, v16
	ds_bpermute_b32 v13, v10, v14
	s_waitcnt lgkmcnt(2)
	v_cmp_lt_i32_sdwa vcc, sext(v19), v20 src0_sel:WORD_0 src1_sel:DWORD
	v_cndmask_b32_e32 v18, v19, v18, vcc
	v_cmp_eq_u16_e32 vcc, v18, v17
	s_and_saveexec_b64 s[0:1], vcc
	s_cbranch_execz .LBB0_107
; %bb.100:
	v_bfe_i32 v18, v17, 0, 16
	v_cmp_eq_u32_sdwa s[4:5], sext(v19), v18 src0_sel:WORD_0 src1_sel:DWORD
	s_and_saveexec_b64 s[2:3], s[4:5]
	s_cbranch_execz .LBB0_106
; %bb.101:
	s_andn2_b64 vcc, exec, s[24:25]
	s_cbranch_vccnz .LBB0_103
; %bb.102:
	s_waitcnt lgkmcnt(1)
	v_cmp_lt_i32_sdwa vcc, sext(v11), v16 src0_sel:WORD_0 src1_sel:DWORD
	v_cndmask_b32_e32 v16, v15, v11, vcc
	s_waitcnt lgkmcnt(0)
	v_cndmask_b32_e32 v18, v12, v13, vcc
	s_cbranch_execz .LBB0_104
	s_branch .LBB0_105
.LBB0_103:
                                        ; implicit-def: $vgpr18
                                        ; implicit-def: $vgpr16
.LBB0_104:
	s_waitcnt lgkmcnt(0)
	v_cmp_gt_i32_sdwa vcc, sext(v13), v14 src0_sel:WORD_0 src1_sel:DWORD
	v_cndmask_b32_e32 v16, v15, v11, vcc
	v_cndmask_b32_e32 v18, v12, v13, vcc
.LBB0_105:
	v_mov_b32_e32 v12, v18
	v_mov_b32_e32 v15, v16
.LBB0_106:
	s_or_b64 exec, exec, s[2:3]
	v_mov_b32_e32 v18, v17
	s_waitcnt lgkmcnt(1)
	v_mov_b32_e32 v11, v15
	s_waitcnt lgkmcnt(0)
	v_mov_b32_e32 v13, v12
.LBB0_107:
	s_or_b64 exec, exec, s[0:1]
	v_cmp_eq_u32_e32 vcc, 0, v4
	s_and_saveexec_b64 s[0:1], vcc
	s_cbranch_execz .LBB0_109
; %bb.108:
	ds_write_b16 v5, v18 offset:7744
	s_waitcnt lgkmcnt(2)
	ds_write_b16 v5, v11 offset:7680
	s_waitcnt lgkmcnt(2)
	ds_write_b16 v5, v13 offset:7808
.LBB0_109:
	s_or_b64 exec, exec, s[0:1]
	s_add_i32 s7, s7, 31
	s_lshr_b32 s0, s7, 5
	v_cmp_gt_u32_e32 vcc, s0, v0
	v_mov_b32_e32 v12, -1
	v_mov_b32_e32 v4, 0
	s_waitcnt lgkmcnt(1)
	v_mov_b32_e32 v11, -1
	s_waitcnt lgkmcnt(0)
	s_barrier
	s_and_saveexec_b64 s[0:1], vcc
	s_cbranch_execz .LBB0_111
; %bb.110:
	ds_read_u16 v11, v3 offset:7808
	ds_read_u16 v4, v3 offset:7744
	;; [unrolled: 1-line block ×3, first 2 shown]
.LBB0_111:
	s_or_b64 exec, exec, s[0:1]
	v_cmp_gt_u32_e32 vcc, 32, v0
	s_waitcnt lgkmcnt(0)
	s_barrier
	s_and_saveexec_b64 s[0:1], vcc
	s_cbranch_execz .LBB0_153
; %bb.112:
	v_bfe_i32 v14, v4, 0, 16
	ds_bpermute_b32 v15, v6, v14
	v_bfe_i32 v3, v12, 0, 16
	v_bfe_i32 v1, v11, 0, 16
	ds_bpermute_b32 v5, v6, v3
	ds_bpermute_b32 v2, v6, v1
	s_waitcnt lgkmcnt(2)
	v_cmp_lt_i32_sdwa vcc, sext(v15), v14 src0_sel:WORD_0 src1_sel:DWORD
	v_cndmask_b32_e32 v13, v15, v4, vcc
	v_cmp_eq_u16_e32 vcc, v13, v4
	v_mov_b32_e32 v6, v13
	s_and_saveexec_b64 s[2:3], vcc
	s_cbranch_execz .LBB0_120
; %bb.113:
	v_cmp_eq_u32_sdwa s[8:9], sext(v15), v14 src0_sel:WORD_0 src1_sel:DWORD
	s_and_saveexec_b64 s[4:5], s[8:9]
	s_cbranch_execz .LBB0_119
; %bb.114:
	s_and_b64 vcc, exec, s[24:25]
	s_cbranch_vccz .LBB0_116
; %bb.115:
	s_waitcnt lgkmcnt(1)
	v_cmp_lt_i32_sdwa vcc, sext(v5), v3 src0_sel:WORD_0 src1_sel:DWORD
	v_cndmask_b32_e32 v3, v12, v5, vcc
	s_waitcnt lgkmcnt(0)
	v_cndmask_b32_e32 v6, v11, v2, vcc
	s_cbranch_execz .LBB0_117
	s_branch .LBB0_118
.LBB0_116:
                                        ; implicit-def: $vgpr6
                                        ; implicit-def: $vgpr3
.LBB0_117:
	s_waitcnt lgkmcnt(0)
	v_cmp_gt_i32_sdwa vcc, sext(v2), v1 src0_sel:WORD_0 src1_sel:DWORD
	v_cndmask_b32_e32 v3, v12, v5, vcc
	v_cndmask_b32_e32 v6, v11, v2, vcc
.LBB0_118:
	v_mov_b32_e32 v11, v6
	v_mov_b32_e32 v12, v3
.LBB0_119:
	s_or_b64 exec, exec, s[4:5]
	v_mov_b32_e32 v6, v4
	s_waitcnt lgkmcnt(1)
	v_mov_b32_e32 v5, v12
	s_waitcnt lgkmcnt(0)
	v_mov_b32_e32 v2, v11
.LBB0_120:
	s_or_b64 exec, exec, s[2:3]
	v_bfe_i32 v11, v13, 0, 16
	ds_bpermute_b32 v14, v7, v11
	s_waitcnt lgkmcnt(2)
	v_bfe_i32 v12, v5, 0, 16
	s_waitcnt lgkmcnt(1)
	v_bfe_i32 v4, v2, 0, 16
	ds_bpermute_b32 v3, v7, v12
	ds_bpermute_b32 v1, v7, v4
	s_waitcnt lgkmcnt(2)
	v_cmp_lt_i32_sdwa vcc, sext(v14), v11 src0_sel:WORD_0 src1_sel:DWORD
	v_cndmask_b32_e32 v11, v14, v13, vcc
	v_cmp_eq_u16_e32 vcc, v11, v6
	v_mov_b32_e32 v7, v11
	s_and_saveexec_b64 s[2:3], vcc
	s_cbranch_execz .LBB0_128
; %bb.121:
	v_bfe_i32 v7, v6, 0, 16
	v_cmp_eq_u32_sdwa s[8:9], sext(v14), v7 src0_sel:WORD_0 src1_sel:DWORD
	s_and_saveexec_b64 s[4:5], s[8:9]
	s_cbranch_execz .LBB0_127
; %bb.122:
	s_andn2_b64 vcc, exec, s[24:25]
	s_cbranch_vccnz .LBB0_124
; %bb.123:
	s_waitcnt lgkmcnt(1)
	v_cmp_lt_i32_sdwa vcc, sext(v3), v12 src0_sel:WORD_0 src1_sel:DWORD
	v_cndmask_b32_e32 v7, v5, v3, vcc
	s_waitcnt lgkmcnt(0)
	v_cndmask_b32_e32 v12, v2, v1, vcc
	s_cbranch_execz .LBB0_125
	s_branch .LBB0_126
.LBB0_124:
                                        ; implicit-def: $vgpr12
                                        ; implicit-def: $vgpr7
.LBB0_125:
	s_waitcnt lgkmcnt(0)
	v_cmp_gt_i32_sdwa vcc, sext(v1), v4 src0_sel:WORD_0 src1_sel:DWORD
	v_cndmask_b32_e32 v7, v5, v3, vcc
	v_cndmask_b32_e32 v12, v2, v1, vcc
.LBB0_126:
	v_mov_b32_e32 v2, v12
	v_mov_b32_e32 v5, v7
.LBB0_127:
	s_or_b64 exec, exec, s[4:5]
	v_mov_b32_e32 v7, v6
	s_waitcnt lgkmcnt(1)
	v_mov_b32_e32 v3, v5
	s_waitcnt lgkmcnt(0)
	v_mov_b32_e32 v1, v2
.LBB0_128:
	s_or_b64 exec, exec, s[2:3]
	v_bfe_i32 v6, v11, 0, 16
	ds_bpermute_b32 v13, v8, v6
	s_waitcnt lgkmcnt(2)
	v_bfe_i32 v12, v3, 0, 16
	s_waitcnt lgkmcnt(1)
	v_bfe_i32 v5, v1, 0, 16
	ds_bpermute_b32 v4, v8, v12
	ds_bpermute_b32 v2, v8, v5
	s_waitcnt lgkmcnt(2)
	v_cmp_lt_i32_sdwa vcc, sext(v13), v6 src0_sel:WORD_0 src1_sel:DWORD
	v_cndmask_b32_e32 v8, v13, v11, vcc
	v_cmp_eq_u16_e32 vcc, v8, v7
	v_mov_b32_e32 v6, v8
	s_and_saveexec_b64 s[2:3], vcc
	s_cbranch_execz .LBB0_136
; %bb.129:
	v_bfe_i32 v6, v7, 0, 16
	v_cmp_eq_u32_sdwa s[8:9], sext(v13), v6 src0_sel:WORD_0 src1_sel:DWORD
	s_and_saveexec_b64 s[4:5], s[8:9]
	s_cbranch_execz .LBB0_135
; %bb.130:
	s_andn2_b64 vcc, exec, s[24:25]
	s_cbranch_vccnz .LBB0_132
; %bb.131:
	s_waitcnt lgkmcnt(1)
	v_cmp_lt_i32_sdwa vcc, sext(v4), v12 src0_sel:WORD_0 src1_sel:DWORD
	v_cndmask_b32_e32 v6, v3, v4, vcc
	s_waitcnt lgkmcnt(0)
	v_cndmask_b32_e32 v11, v1, v2, vcc
	s_cbranch_execz .LBB0_133
	s_branch .LBB0_134
.LBB0_132:
                                        ; implicit-def: $vgpr11
                                        ; implicit-def: $vgpr6
.LBB0_133:
	s_waitcnt lgkmcnt(0)
	v_cmp_gt_i32_sdwa vcc, sext(v2), v5 src0_sel:WORD_0 src1_sel:DWORD
	v_cndmask_b32_e32 v6, v3, v4, vcc
	v_cndmask_b32_e32 v11, v1, v2, vcc
.LBB0_134:
	v_mov_b32_e32 v1, v11
	v_mov_b32_e32 v3, v6
.LBB0_135:
	s_or_b64 exec, exec, s[4:5]
	v_mov_b32_e32 v6, v7
	s_waitcnt lgkmcnt(1)
	v_mov_b32_e32 v4, v3
	s_waitcnt lgkmcnt(0)
	v_mov_b32_e32 v2, v1
.LBB0_136:
	s_or_b64 exec, exec, s[2:3]
	v_bfe_i32 v7, v8, 0, 16
	ds_bpermute_b32 v12, v9, v7
	s_waitcnt lgkmcnt(2)
	v_bfe_i32 v11, v4, 0, 16
	s_waitcnt lgkmcnt(1)
	v_bfe_i32 v1, v2, 0, 16
	ds_bpermute_b32 v5, v9, v11
	ds_bpermute_b32 v3, v9, v1
	s_waitcnt lgkmcnt(2)
	v_cmp_lt_i32_sdwa vcc, sext(v12), v7 src0_sel:WORD_0 src1_sel:DWORD
	v_cndmask_b32_e32 v8, v12, v8, vcc
	v_cmp_eq_u16_e32 vcc, v8, v6
	v_mov_b32_e32 v7, v8
	s_and_saveexec_b64 s[2:3], vcc
	s_cbranch_execz .LBB0_144
; %bb.137:
	v_bfe_i32 v7, v6, 0, 16
	v_cmp_eq_u32_sdwa s[8:9], sext(v12), v7 src0_sel:WORD_0 src1_sel:DWORD
	s_and_saveexec_b64 s[4:5], s[8:9]
	s_cbranch_execz .LBB0_143
; %bb.138:
	s_andn2_b64 vcc, exec, s[24:25]
	s_cbranch_vccnz .LBB0_140
; %bb.139:
	s_waitcnt lgkmcnt(1)
	v_cmp_lt_i32_sdwa vcc, sext(v5), v11 src0_sel:WORD_0 src1_sel:DWORD
	v_cndmask_b32_e32 v7, v4, v5, vcc
	s_waitcnt lgkmcnt(0)
	v_cndmask_b32_e32 v9, v2, v3, vcc
	s_cbranch_execz .LBB0_141
	s_branch .LBB0_142
.LBB0_140:
                                        ; implicit-def: $vgpr9
                                        ; implicit-def: $vgpr7
.LBB0_141:
	s_waitcnt lgkmcnt(0)
	v_cmp_gt_i32_sdwa vcc, sext(v3), v1 src0_sel:WORD_0 src1_sel:DWORD
	v_cndmask_b32_e32 v7, v4, v5, vcc
	v_cndmask_b32_e32 v9, v2, v3, vcc
.LBB0_142:
	v_mov_b32_e32 v2, v9
	v_mov_b32_e32 v4, v7
.LBB0_143:
	s_or_b64 exec, exec, s[4:5]
	v_mov_b32_e32 v7, v6
	s_waitcnt lgkmcnt(1)
	v_mov_b32_e32 v5, v4
	s_waitcnt lgkmcnt(0)
	v_mov_b32_e32 v3, v2
.LBB0_144:
	s_or_b64 exec, exec, s[2:3]
	v_bfe_i32 v4, v8, 0, 16
	ds_bpermute_b32 v11, v10, v4
	s_waitcnt lgkmcnt(2)
	v_bfe_i32 v9, v5, 0, 16
	s_waitcnt lgkmcnt(1)
	v_bfe_i32 v6, v3, 0, 16
	ds_bpermute_b32 v1, v10, v9
	ds_bpermute_b32 v2, v10, v6
	s_waitcnt lgkmcnt(2)
	v_cmp_lt_i32_sdwa vcc, sext(v11), v4 src0_sel:WORD_0 src1_sel:DWORD
	v_cndmask_b32_e32 v4, v11, v8, vcc
	v_cmp_eq_u16_e32 vcc, v4, v7
	s_and_saveexec_b64 s[2:3], vcc
	s_cbranch_execz .LBB0_152
; %bb.145:
	v_bfe_i32 v4, v7, 0, 16
	v_cmp_eq_u32_sdwa s[8:9], sext(v11), v4 src0_sel:WORD_0 src1_sel:DWORD
	s_and_saveexec_b64 s[4:5], s[8:9]
	s_cbranch_execz .LBB0_151
; %bb.146:
	s_andn2_b64 vcc, exec, s[24:25]
	s_cbranch_vccnz .LBB0_148
; %bb.147:
	s_waitcnt lgkmcnt(1)
	v_cmp_lt_i32_sdwa vcc, sext(v1), v9 src0_sel:WORD_0 src1_sel:DWORD
	v_cndmask_b32_e32 v4, v5, v1, vcc
	s_waitcnt lgkmcnt(0)
	v_cndmask_b32_e32 v8, v3, v2, vcc
	s_cbranch_execz .LBB0_149
	s_branch .LBB0_150
.LBB0_148:
                                        ; implicit-def: $vgpr8
                                        ; implicit-def: $vgpr4
.LBB0_149:
	s_waitcnt lgkmcnt(0)
	v_cmp_gt_i32_sdwa vcc, sext(v2), v6 src0_sel:WORD_0 src1_sel:DWORD
	v_cndmask_b32_e32 v4, v5, v1, vcc
	v_cndmask_b32_e32 v8, v3, v2, vcc
.LBB0_150:
	v_mov_b32_e32 v3, v8
	v_mov_b32_e32 v5, v4
.LBB0_151:
	s_or_b64 exec, exec, s[4:5]
	v_mov_b32_e32 v4, v7
	s_waitcnt lgkmcnt(0)
	v_mov_b32_e32 v2, v3
	v_mov_b32_e32 v1, v5
.LBB0_152:
	s_or_b64 exec, exec, s[2:3]
.LBB0_153:
	s_or_b64 exec, exec, s[0:1]
	v_cmp_eq_u32_e64 s[0:1], 0, v0
	s_mov_b64 s[2:3], -1
	s_and_b64 vcc, exec, s[24:25]
	s_cbranch_vccz .LBB0_160
; %bb.154:
	s_and_saveexec_b64 s[2:3], s[0:1]
	s_cbranch_execz .LBB0_159
; %bb.155:
	s_ashr_i32 s7, s6, 31
	s_lshl_b64 s[8:9], s[6:7], 1
	s_add_u32 s4, s26, s8
	s_addc_u32 s5, s27, s9
	s_mov_b64 s[10:11], -1
	s_and_b64 vcc, exec, s[28:29]
	s_cbranch_vccz .LBB0_157
; %bb.156:
	s_add_u32 s10, s16, s8
	s_addc_u32 s11, s17, s9
	v_mov_b32_e32 v0, 0
	s_waitcnt lgkmcnt(1)
	global_store_short v0, v1, s[10:11]
	s_add_u32 s10, s20, s8
	s_addc_u32 s11, s21, s9
	s_waitcnt lgkmcnt(0)
	global_store_short v0, v2, s[10:11]
	global_store_short v0, v4, s[4:5]
	s_mov_b64 s[10:11], 0
.LBB0_157:
	s_andn2_b64 vcc, exec, s[10:11]
	s_cbranch_vccnz .LBB0_159
; %bb.158:
	s_add_u32 s10, s20, s8
	s_addc_u32 s11, s21, s9
	s_add_u32 s8, s16, s8
	v_mov_b32_e32 v0, 0
	s_addc_u32 s9, s17, s9
	s_waitcnt lgkmcnt(1)
	global_store_short v0, v1, s[10:11]
	s_waitcnt lgkmcnt(0)
	global_store_short v0, v2, s[8:9]
	global_store_short v0, v4, s[4:5]
.LBB0_159:
	s_or_b64 exec, exec, s[2:3]
	s_mov_b64 s[2:3], 0
.LBB0_160:
	s_andn2_b64 vcc, exec, s[2:3]
	s_cbranch_vccnz .LBB0_166
; %bb.161:
	s_and_saveexec_b64 s[2:3], s[0:1]
	s_cbranch_execz .LBB0_166
; %bb.162:
	s_ashr_i32 s7, s6, 31
	s_mov_b64 s[0:1], -1
	s_and_b64 vcc, exec, s[28:29]
	s_cbranch_vccz .LBB0_164
; %bb.163:
	s_lshl_b64 s[0:1], s[6:7], 1
	s_add_u32 s2, s18, s0
	s_addc_u32 s3, s19, s1
	s_add_u32 s0, s22, s0
	v_mov_b32_e32 v0, 0
	s_addc_u32 s1, s23, s1
	s_waitcnt lgkmcnt(1)
	global_store_short v0, v1, s[2:3]
	s_waitcnt lgkmcnt(0)
	global_store_short v0, v2, s[0:1]
	s_mov_b64 s[0:1], 0
.LBB0_164:
	s_andn2_b64 vcc, exec, s[0:1]
	s_cbranch_vccnz .LBB0_166
; %bb.165:
	s_lshl_b64 s[0:1], s[6:7], 1
	s_add_u32 s2, s22, s0
	s_addc_u32 s3, s23, s1
	s_add_u32 s0, s18, s0
	v_mov_b32_e32 v0, 0
	s_addc_u32 s1, s19, s1
	s_waitcnt lgkmcnt(1)
	global_store_short v0, v1, s[2:3]
	s_waitcnt lgkmcnt(0)
	global_store_short v0, v2, s[0:1]
.LBB0_166:
	s_endpgm
	.section	.rodata,"a",@progbits
	.p2align	6, 0x0
	.amdhsa_kernel _Z18sequence_aa_kernelbPKcS0_PKjS2_PsS3_S3_S3_S3_ssPKsS5_
		.amdhsa_group_segment_fixed_size 7872
		.amdhsa_private_segment_fixed_size 0
		.amdhsa_kernarg_size 360
		.amdhsa_user_sgpr_count 6
		.amdhsa_user_sgpr_private_segment_buffer 1
		.amdhsa_user_sgpr_dispatch_ptr 0
		.amdhsa_user_sgpr_queue_ptr 0
		.amdhsa_user_sgpr_kernarg_segment_ptr 1
		.amdhsa_user_sgpr_dispatch_id 0
		.amdhsa_user_sgpr_flat_scratch_init 0
		.amdhsa_user_sgpr_kernarg_preload_length 0
		.amdhsa_user_sgpr_kernarg_preload_offset 0
		.amdhsa_user_sgpr_private_segment_size 0
		.amdhsa_uses_dynamic_stack 0
		.amdhsa_system_sgpr_private_segment_wavefront_offset 0
		.amdhsa_system_sgpr_workgroup_id_x 1
		.amdhsa_system_sgpr_workgroup_id_y 0
		.amdhsa_system_sgpr_workgroup_id_z 0
		.amdhsa_system_sgpr_workgroup_info 0
		.amdhsa_system_vgpr_workitem_id 0
		.amdhsa_next_free_vgpr 42
		.amdhsa_next_free_sgpr 46
		.amdhsa_accum_offset 44
		.amdhsa_reserve_vcc 1
		.amdhsa_reserve_flat_scratch 0
		.amdhsa_float_round_mode_32 0
		.amdhsa_float_round_mode_16_64 0
		.amdhsa_float_denorm_mode_32 3
		.amdhsa_float_denorm_mode_16_64 3
		.amdhsa_dx10_clamp 1
		.amdhsa_ieee_mode 1
		.amdhsa_fp16_overflow 0
		.amdhsa_tg_split 0
		.amdhsa_exception_fp_ieee_invalid_op 0
		.amdhsa_exception_fp_denorm_src 0
		.amdhsa_exception_fp_ieee_div_zero 0
		.amdhsa_exception_fp_ieee_overflow 0
		.amdhsa_exception_fp_ieee_underflow 0
		.amdhsa_exception_fp_ieee_inexact 0
		.amdhsa_exception_int_div_zero 0
	.end_amdhsa_kernel
	.text
.Lfunc_end0:
	.size	_Z18sequence_aa_kernelbPKcS0_PKjS2_PsS3_S3_S3_S3_ssPKsS5_, .Lfunc_end0-_Z18sequence_aa_kernelbPKcS0_PKjS2_PsS3_S3_S3_S3_ssPKsS5_
                                        ; -- End function
	.section	.AMDGPU.csdata,"",@progbits
; Kernel info:
; codeLenInByte = 5984
; NumSgprs: 50
; NumVgprs: 42
; NumAgprs: 0
; TotalNumVgprs: 42
; ScratchSize: 0
; MemoryBound: 0
; FloatMode: 240
; IeeeMode: 1
; LDSByteSize: 7872 bytes/workgroup (compile time only)
; SGPRBlocks: 6
; VGPRBlocks: 5
; NumSGPRsForWavesPerEU: 50
; NumVGPRsForWavesPerEU: 42
; AccumOffset: 44
; Occupancy: 8
; WaveLimiterHint : 0
; COMPUTE_PGM_RSRC2:SCRATCH_EN: 0
; COMPUTE_PGM_RSRC2:USER_SGPR: 6
; COMPUTE_PGM_RSRC2:TRAP_HANDLER: 0
; COMPUTE_PGM_RSRC2:TGID_X_EN: 1
; COMPUTE_PGM_RSRC2:TGID_Y_EN: 0
; COMPUTE_PGM_RSRC2:TGID_Z_EN: 0
; COMPUTE_PGM_RSRC2:TIDIG_COMP_CNT: 0
; COMPUTE_PGM_RSRC3_GFX90A:ACCUM_OFFSET: 10
; COMPUTE_PGM_RSRC3_GFX90A:TG_SPLIT: 0
	.text
	.p2alignl 6, 3212836864
	.fill 256, 4, 3212836864
	.type	__hip_cuid_dbf96a6ed76f2b74,@object ; @__hip_cuid_dbf96a6ed76f2b74
	.section	.bss,"aw",@nobits
	.globl	__hip_cuid_dbf96a6ed76f2b74
__hip_cuid_dbf96a6ed76f2b74:
	.byte	0                               ; 0x0
	.size	__hip_cuid_dbf96a6ed76f2b74, 1

	.ident	"AMD clang version 19.0.0git (https://github.com/RadeonOpenCompute/llvm-project roc-6.4.0 25133 c7fe45cf4b819c5991fe208aaa96edf142730f1d)"
	.section	".note.GNU-stack","",@progbits
	.addrsig
	.addrsig_sym __hip_cuid_dbf96a6ed76f2b74
	.amdgpu_metadata
---
amdhsa.kernels:
  - .agpr_count:     0
    .args:
      - .offset:         0
        .size:           1
        .value_kind:     by_value
      - .actual_access:  read_only
        .address_space:  global
        .offset:         8
        .size:           8
        .value_kind:     global_buffer
      - .actual_access:  read_only
        .address_space:  global
        .offset:         16
        .size:           8
        .value_kind:     global_buffer
      - .actual_access:  read_only
        .address_space:  global
        .offset:         24
        .size:           8
        .value_kind:     global_buffer
      - .actual_access:  read_only
        .address_space:  global
        .offset:         32
        .size:           8
        .value_kind:     global_buffer
      - .actual_access:  write_only
        .address_space:  global
        .offset:         40
        .size:           8
        .value_kind:     global_buffer
      - .address_space:  global
        .offset:         48
        .size:           8
        .value_kind:     global_buffer
      - .actual_access:  write_only
        .address_space:  global
        .offset:         56
        .size:           8
        .value_kind:     global_buffer
      - .address_space:  global
        .offset:         64
        .size:           8
        .value_kind:     global_buffer
      - .actual_access:  write_only
        .address_space:  global
        .offset:         72
        .size:           8
        .value_kind:     global_buffer
      - .offset:         80
        .size:           2
        .value_kind:     by_value
      - .offset:         82
        .size:           2
        .value_kind:     by_value
      - .actual_access:  read_only
        .address_space:  global
        .offset:         88
        .size:           8
        .value_kind:     global_buffer
      - .actual_access:  read_only
        .address_space:  global
        .offset:         96
        .size:           8
        .value_kind:     global_buffer
      - .offset:         104
        .size:           4
        .value_kind:     hidden_block_count_x
      - .offset:         108
        .size:           4
        .value_kind:     hidden_block_count_y
      - .offset:         112
        .size:           4
        .value_kind:     hidden_block_count_z
      - .offset:         116
        .size:           2
        .value_kind:     hidden_group_size_x
      - .offset:         118
        .size:           2
        .value_kind:     hidden_group_size_y
      - .offset:         120
        .size:           2
        .value_kind:     hidden_group_size_z
      - .offset:         122
        .size:           2
        .value_kind:     hidden_remainder_x
      - .offset:         124
        .size:           2
        .value_kind:     hidden_remainder_y
      - .offset:         126
        .size:           2
        .value_kind:     hidden_remainder_z
      - .offset:         144
        .size:           8
        .value_kind:     hidden_global_offset_x
      - .offset:         152
        .size:           8
        .value_kind:     hidden_global_offset_y
      - .offset:         160
        .size:           8
        .value_kind:     hidden_global_offset_z
      - .offset:         168
        .size:           2
        .value_kind:     hidden_grid_dims
      - .offset:         224
        .size:           4
        .value_kind:     hidden_dynamic_lds_size
    .group_segment_fixed_size: 7872
    .kernarg_segment_align: 8
    .kernarg_segment_size: 360
    .language:       OpenCL C
    .language_version:
      - 2
      - 0
    .max_flat_workgroup_size: 1024
    .name:           _Z18sequence_aa_kernelbPKcS0_PKjS2_PsS3_S3_S3_S3_ssPKsS5_
    .private_segment_fixed_size: 0
    .sgpr_count:     50
    .sgpr_spill_count: 0
    .symbol:         _Z18sequence_aa_kernelbPKcS0_PKjS2_PsS3_S3_S3_S3_ssPKsS5_.kd
    .uniform_work_group_size: 1
    .uses_dynamic_stack: false
    .vgpr_count:     42
    .vgpr_spill_count: 0
    .wavefront_size: 64
amdhsa.target:   amdgcn-amd-amdhsa--gfx90a
amdhsa.version:
  - 1
  - 2
...

	.end_amdgpu_metadata
